;; amdgpu-corpus repo=ROCm/rocFFT kind=compiled arch=gfx1201 opt=O3
	.text
	.amdgcn_target "amdgcn-amd-amdhsa--gfx1201"
	.amdhsa_code_object_version 6
	.protected	fft_rtc_fwd_len39_factors_13_3_wgs_247_tpt_13_halfLds_sp_ip_CI_unitstride_sbrr_dirReg ; -- Begin function fft_rtc_fwd_len39_factors_13_3_wgs_247_tpt_13_halfLds_sp_ip_CI_unitstride_sbrr_dirReg
	.globl	fft_rtc_fwd_len39_factors_13_3_wgs_247_tpt_13_halfLds_sp_ip_CI_unitstride_sbrr_dirReg
	.p2align	8
	.type	fft_rtc_fwd_len39_factors_13_3_wgs_247_tpt_13_halfLds_sp_ip_CI_unitstride_sbrr_dirReg,@function
fft_rtc_fwd_len39_factors_13_3_wgs_247_tpt_13_halfLds_sp_ip_CI_unitstride_sbrr_dirReg: ; @fft_rtc_fwd_len39_factors_13_3_wgs_247_tpt_13_halfLds_sp_ip_CI_unitstride_sbrr_dirReg
; %bb.0:
	s_load_b128 s[4:7], s[0:1], 0x0
	v_mul_u32_u24_e32 v1, 0x13b2, v0
	s_clause 0x1
	s_load_b64 s[8:9], s[0:1], 0x50
	s_load_b64 s[10:11], s[0:1], 0x18
	v_mov_b32_e32 v3, 0
	v_lshrrev_b32_e32 v1, 16, v1
	s_delay_alu instid0(VALU_DEP_1) | instskip(SKIP_3) | instid1(VALU_DEP_1)
	v_mad_co_u64_u32 v[31:32], null, ttmp9, 19, v[1:2]
	v_mov_b32_e32 v1, 0
	v_mov_b32_e32 v2, 0
	;; [unrolled: 1-line block ×3, first 2 shown]
	v_dual_mov_b32 v7, v31 :: v_dual_mov_b32 v8, v32
	s_wait_kmcnt 0x0
	v_cmp_lt_u64_e64 s2, s[6:7], 2
	s_delay_alu instid0(VALU_DEP_1)
	s_and_b32 vcc_lo, exec_lo, s2
	s_cbranch_vccnz .LBB0_8
; %bb.1:
	s_load_b64 s[2:3], s[0:1], 0x10
	v_mov_b32_e32 v1, 0
	v_dual_mov_b32 v2, 0 :: v_dual_mov_b32 v5, v31
	v_mov_b32_e32 v6, v32
	s_add_nc_u64 s[12:13], s[10:11], 8
	s_mov_b64 s[14:15], 1
	s_wait_kmcnt 0x0
	s_add_nc_u64 s[16:17], s[2:3], 8
	s_mov_b32 s3, 0
.LBB0_2:                                ; =>This Inner Loop Header: Depth=1
	s_load_b64 s[18:19], s[16:17], 0x0
                                        ; implicit-def: $vgpr7_vgpr8
	s_mov_b32 s2, exec_lo
	s_wait_kmcnt 0x0
	v_or_b32_e32 v4, s19, v6
	s_delay_alu instid0(VALU_DEP_1)
	v_cmpx_ne_u64_e32 0, v[3:4]
	s_wait_alu 0xfffe
	s_xor_b32 s20, exec_lo, s2
	s_cbranch_execz .LBB0_4
; %bb.3:                                ;   in Loop: Header=BB0_2 Depth=1
	s_cvt_f32_u32 s2, s18
	s_cvt_f32_u32 s21, s19
	s_sub_nc_u64 s[24:25], 0, s[18:19]
	s_wait_alu 0xfffe
	s_delay_alu instid0(SALU_CYCLE_1) | instskip(SKIP_1) | instid1(SALU_CYCLE_2)
	s_fmamk_f32 s2, s21, 0x4f800000, s2
	s_wait_alu 0xfffe
	v_s_rcp_f32 s2, s2
	s_delay_alu instid0(TRANS32_DEP_1) | instskip(SKIP_1) | instid1(SALU_CYCLE_2)
	s_mul_f32 s2, s2, 0x5f7ffffc
	s_wait_alu 0xfffe
	s_mul_f32 s21, s2, 0x2f800000
	s_wait_alu 0xfffe
	s_delay_alu instid0(SALU_CYCLE_2) | instskip(SKIP_1) | instid1(SALU_CYCLE_2)
	s_trunc_f32 s21, s21
	s_wait_alu 0xfffe
	s_fmamk_f32 s2, s21, 0xcf800000, s2
	s_cvt_u32_f32 s23, s21
	s_wait_alu 0xfffe
	s_delay_alu instid0(SALU_CYCLE_1) | instskip(SKIP_1) | instid1(SALU_CYCLE_2)
	s_cvt_u32_f32 s22, s2
	s_wait_alu 0xfffe
	s_mul_u64 s[26:27], s[24:25], s[22:23]
	s_wait_alu 0xfffe
	s_mul_hi_u32 s29, s22, s27
	s_mul_i32 s28, s22, s27
	s_mul_hi_u32 s2, s22, s26
	s_mul_i32 s30, s23, s26
	s_wait_alu 0xfffe
	s_add_nc_u64 s[28:29], s[2:3], s[28:29]
	s_mul_hi_u32 s21, s23, s26
	s_mul_hi_u32 s31, s23, s27
	s_add_co_u32 s2, s28, s30
	s_wait_alu 0xfffe
	s_add_co_ci_u32 s2, s29, s21
	s_mul_i32 s26, s23, s27
	s_add_co_ci_u32 s27, s31, 0
	s_wait_alu 0xfffe
	s_add_nc_u64 s[26:27], s[2:3], s[26:27]
	s_wait_alu 0xfffe
	v_add_co_u32 v4, s2, s22, s26
	s_delay_alu instid0(VALU_DEP_1) | instskip(SKIP_1) | instid1(VALU_DEP_1)
	s_cmp_lg_u32 s2, 0
	s_add_co_ci_u32 s23, s23, s27
	v_readfirstlane_b32 s22, v4
	s_wait_alu 0xfffe
	s_delay_alu instid0(VALU_DEP_1)
	s_mul_u64 s[24:25], s[24:25], s[22:23]
	s_wait_alu 0xfffe
	s_mul_hi_u32 s27, s22, s25
	s_mul_i32 s26, s22, s25
	s_mul_hi_u32 s2, s22, s24
	s_mul_i32 s28, s23, s24
	s_wait_alu 0xfffe
	s_add_nc_u64 s[26:27], s[2:3], s[26:27]
	s_mul_hi_u32 s21, s23, s24
	s_mul_hi_u32 s22, s23, s25
	s_wait_alu 0xfffe
	s_add_co_u32 s2, s26, s28
	s_add_co_ci_u32 s2, s27, s21
	s_mul_i32 s24, s23, s25
	s_add_co_ci_u32 s25, s22, 0
	s_wait_alu 0xfffe
	s_add_nc_u64 s[24:25], s[2:3], s[24:25]
	s_wait_alu 0xfffe
	v_add_co_u32 v4, s2, v4, s24
	s_delay_alu instid0(VALU_DEP_1) | instskip(SKIP_1) | instid1(VALU_DEP_1)
	s_cmp_lg_u32 s2, 0
	s_add_co_ci_u32 s2, s23, s25
	v_mul_hi_u32 v13, v5, v4
	s_wait_alu 0xfffe
	v_mad_co_u64_u32 v[7:8], null, v5, s2, 0
	v_mad_co_u64_u32 v[9:10], null, v6, v4, 0
	;; [unrolled: 1-line block ×3, first 2 shown]
	s_delay_alu instid0(VALU_DEP_3) | instskip(SKIP_1) | instid1(VALU_DEP_4)
	v_add_co_u32 v4, vcc_lo, v13, v7
	s_wait_alu 0xfffd
	v_add_co_ci_u32_e32 v7, vcc_lo, 0, v8, vcc_lo
	s_delay_alu instid0(VALU_DEP_2) | instskip(SKIP_1) | instid1(VALU_DEP_2)
	v_add_co_u32 v4, vcc_lo, v4, v9
	s_wait_alu 0xfffd
	v_add_co_ci_u32_e32 v4, vcc_lo, v7, v10, vcc_lo
	s_wait_alu 0xfffd
	v_add_co_ci_u32_e32 v7, vcc_lo, 0, v12, vcc_lo
	s_delay_alu instid0(VALU_DEP_2) | instskip(SKIP_1) | instid1(VALU_DEP_2)
	v_add_co_u32 v4, vcc_lo, v4, v11
	s_wait_alu 0xfffd
	v_add_co_ci_u32_e32 v9, vcc_lo, 0, v7, vcc_lo
	s_delay_alu instid0(VALU_DEP_2) | instskip(SKIP_1) | instid1(VALU_DEP_3)
	v_mul_lo_u32 v10, s19, v4
	v_mad_co_u64_u32 v[7:8], null, s18, v4, 0
	v_mul_lo_u32 v11, s18, v9
	s_delay_alu instid0(VALU_DEP_2) | instskip(NEXT) | instid1(VALU_DEP_2)
	v_sub_co_u32 v7, vcc_lo, v5, v7
	v_add3_u32 v8, v8, v11, v10
	s_delay_alu instid0(VALU_DEP_1) | instskip(SKIP_1) | instid1(VALU_DEP_1)
	v_sub_nc_u32_e32 v10, v6, v8
	s_wait_alu 0xfffd
	v_subrev_co_ci_u32_e64 v10, s2, s19, v10, vcc_lo
	v_add_co_u32 v11, s2, v4, 2
	s_wait_alu 0xf1ff
	v_add_co_ci_u32_e64 v12, s2, 0, v9, s2
	v_sub_co_u32 v13, s2, v7, s18
	v_sub_co_ci_u32_e32 v8, vcc_lo, v6, v8, vcc_lo
	s_wait_alu 0xf1ff
	v_subrev_co_ci_u32_e64 v10, s2, 0, v10, s2
	s_delay_alu instid0(VALU_DEP_3) | instskip(NEXT) | instid1(VALU_DEP_3)
	v_cmp_le_u32_e32 vcc_lo, s18, v13
	v_cmp_eq_u32_e64 s2, s19, v8
	s_wait_alu 0xfffd
	v_cndmask_b32_e64 v13, 0, -1, vcc_lo
	v_cmp_le_u32_e32 vcc_lo, s19, v10
	s_wait_alu 0xfffd
	v_cndmask_b32_e64 v14, 0, -1, vcc_lo
	v_cmp_le_u32_e32 vcc_lo, s18, v7
	;; [unrolled: 3-line block ×3, first 2 shown]
	s_wait_alu 0xfffd
	v_cndmask_b32_e64 v15, 0, -1, vcc_lo
	v_cmp_eq_u32_e32 vcc_lo, s19, v10
	s_wait_alu 0xf1ff
	s_delay_alu instid0(VALU_DEP_2)
	v_cndmask_b32_e64 v7, v15, v7, s2
	s_wait_alu 0xfffd
	v_cndmask_b32_e32 v10, v14, v13, vcc_lo
	v_add_co_u32 v13, vcc_lo, v4, 1
	s_wait_alu 0xfffd
	v_add_co_ci_u32_e32 v14, vcc_lo, 0, v9, vcc_lo
	s_delay_alu instid0(VALU_DEP_3) | instskip(SKIP_2) | instid1(VALU_DEP_3)
	v_cmp_ne_u32_e32 vcc_lo, 0, v10
	s_wait_alu 0xfffd
	v_cndmask_b32_e32 v10, v13, v11, vcc_lo
	v_cndmask_b32_e32 v8, v14, v12, vcc_lo
	v_cmp_ne_u32_e32 vcc_lo, 0, v7
	s_wait_alu 0xfffd
	s_delay_alu instid0(VALU_DEP_2)
	v_dual_cndmask_b32 v7, v4, v10 :: v_dual_cndmask_b32 v8, v9, v8
.LBB0_4:                                ;   in Loop: Header=BB0_2 Depth=1
	s_wait_alu 0xfffe
	s_and_not1_saveexec_b32 s2, s20
	s_cbranch_execz .LBB0_6
; %bb.5:                                ;   in Loop: Header=BB0_2 Depth=1
	v_cvt_f32_u32_e32 v4, s18
	s_sub_co_i32 s20, 0, s18
	s_delay_alu instid0(VALU_DEP_1) | instskip(NEXT) | instid1(TRANS32_DEP_1)
	v_rcp_iflag_f32_e32 v4, v4
	v_mul_f32_e32 v4, 0x4f7ffffe, v4
	s_delay_alu instid0(VALU_DEP_1) | instskip(SKIP_1) | instid1(VALU_DEP_1)
	v_cvt_u32_f32_e32 v4, v4
	s_wait_alu 0xfffe
	v_mul_lo_u32 v7, s20, v4
	s_delay_alu instid0(VALU_DEP_1) | instskip(NEXT) | instid1(VALU_DEP_1)
	v_mul_hi_u32 v7, v4, v7
	v_add_nc_u32_e32 v4, v4, v7
	s_delay_alu instid0(VALU_DEP_1) | instskip(NEXT) | instid1(VALU_DEP_1)
	v_mul_hi_u32 v4, v5, v4
	v_mul_lo_u32 v7, v4, s18
	v_add_nc_u32_e32 v8, 1, v4
	s_delay_alu instid0(VALU_DEP_2) | instskip(NEXT) | instid1(VALU_DEP_1)
	v_sub_nc_u32_e32 v7, v5, v7
	v_subrev_nc_u32_e32 v9, s18, v7
	v_cmp_le_u32_e32 vcc_lo, s18, v7
	s_wait_alu 0xfffd
	s_delay_alu instid0(VALU_DEP_2) | instskip(NEXT) | instid1(VALU_DEP_1)
	v_dual_cndmask_b32 v7, v7, v9 :: v_dual_cndmask_b32 v4, v4, v8
	v_cmp_le_u32_e32 vcc_lo, s18, v7
	s_delay_alu instid0(VALU_DEP_2) | instskip(SKIP_1) | instid1(VALU_DEP_1)
	v_add_nc_u32_e32 v8, 1, v4
	s_wait_alu 0xfffd
	v_dual_cndmask_b32 v7, v4, v8 :: v_dual_mov_b32 v8, v3
.LBB0_6:                                ;   in Loop: Header=BB0_2 Depth=1
	s_wait_alu 0xfffe
	s_or_b32 exec_lo, exec_lo, s2
	s_load_b64 s[20:21], s[12:13], 0x0
	s_delay_alu instid0(VALU_DEP_1)
	v_mul_lo_u32 v4, v8, s18
	v_mul_lo_u32 v11, v7, s19
	v_mad_co_u64_u32 v[9:10], null, v7, s18, 0
	s_add_nc_u64 s[14:15], s[14:15], 1
	s_add_nc_u64 s[12:13], s[12:13], 8
	s_wait_alu 0xfffe
	v_cmp_ge_u64_e64 s2, s[14:15], s[6:7]
	s_add_nc_u64 s[16:17], s[16:17], 8
	s_delay_alu instid0(VALU_DEP_2) | instskip(NEXT) | instid1(VALU_DEP_3)
	v_add3_u32 v4, v10, v11, v4
	v_sub_co_u32 v5, vcc_lo, v5, v9
	s_wait_alu 0xfffd
	s_delay_alu instid0(VALU_DEP_2) | instskip(SKIP_3) | instid1(VALU_DEP_2)
	v_sub_co_ci_u32_e32 v4, vcc_lo, v6, v4, vcc_lo
	s_and_b32 vcc_lo, exec_lo, s2
	s_wait_kmcnt 0x0
	v_mul_lo_u32 v6, s21, v5
	v_mul_lo_u32 v4, s20, v4
	v_mad_co_u64_u32 v[1:2], null, s20, v5, v[1:2]
	s_delay_alu instid0(VALU_DEP_1)
	v_add3_u32 v2, v6, v2, v4
	s_wait_alu 0xfffe
	s_cbranch_vccnz .LBB0_8
; %bb.7:                                ;   in Loop: Header=BB0_2 Depth=1
	v_dual_mov_b32 v5, v7 :: v_dual_mov_b32 v6, v8
	s_branch .LBB0_2
.LBB0_8:
	s_lshl_b64 s[2:3], s[6:7], 3
	v_mul_hi_u32 v3, 0x13b13b14, v0
	s_wait_alu 0xfffe
	s_add_nc_u64 s[2:3], s[10:11], s[2:3]
	v_dual_mov_b32 v18, 0 :: v_dual_mov_b32 v17, 0
	s_load_b64 s[2:3], s[2:3], 0x0
	s_load_b64 s[0:1], s[0:1], 0x20
	v_mov_b32_e32 v4, 0
                                        ; implicit-def: $vgpr30
                                        ; implicit-def: $vgpr28
                                        ; implicit-def: $vgpr20
                                        ; implicit-def: $vgpr14
                                        ; implicit-def: $vgpr10
                                        ; implicit-def: $vgpr24
                                        ; implicit-def: $vgpr26
                                        ; implicit-def: $vgpr22
                                        ; implicit-def: $vgpr16
                                        ; implicit-def: $vgpr12
	s_delay_alu instid0(VALU_DEP_3) | instskip(NEXT) | instid1(VALU_DEP_1)
	v_mul_u32_u24_e32 v3, 13, v3
	v_sub_nc_u32_e32 v3, v0, v3
	s_wait_kmcnt 0x0
	v_mul_lo_u32 v5, s2, v8
	v_mul_lo_u32 v6, s3, v7
	v_mad_co_u64_u32 v[1:2], null, s2, v7, v[1:2]
	v_cmp_gt_u64_e32 vcc_lo, s[0:1], v[7:8]
                                        ; implicit-def: $vgpr8
	s_delay_alu instid0(VALU_DEP_2)
	v_add3_u32 v2, v6, v2, v5
                                        ; implicit-def: $vgpr6
	s_and_saveexec_b32 s1, vcc_lo
	s_cbranch_execz .LBB0_12
; %bb.9:
	v_dual_mov_b32 v17, 0 :: v_dual_mov_b32 v18, 0
	s_mov_b32 s2, exec_lo
                                        ; implicit-def: $vgpr7
                                        ; implicit-def: $vgpr11
                                        ; implicit-def: $vgpr15
                                        ; implicit-def: $vgpr21
                                        ; implicit-def: $vgpr25
                                        ; implicit-def: $vgpr23
                                        ; implicit-def: $vgpr5
                                        ; implicit-def: $vgpr9
                                        ; implicit-def: $vgpr13
                                        ; implicit-def: $vgpr19
                                        ; implicit-def: $vgpr27
                                        ; implicit-def: $vgpr29
	v_cmpx_gt_u32_e32 3, v3
; %bb.10:
	v_mov_b32_e32 v4, 0
	v_lshlrev_b64_e32 v[5:6], 3, v[1:2]
	s_delay_alu instid0(VALU_DEP_2) | instskip(NEXT) | instid1(VALU_DEP_2)
	v_lshlrev_b64_e32 v[7:8], 3, v[3:4]
	v_add_co_u32 v0, s0, s8, v5
	s_wait_alu 0xf1ff
	s_delay_alu instid0(VALU_DEP_3) | instskip(NEXT) | instid1(VALU_DEP_2)
	v_add_co_ci_u32_e64 v4, s0, s9, v6, s0
	v_add_co_u32 v23, s0, v0, v7
	s_wait_alu 0xf1ff
	s_delay_alu instid0(VALU_DEP_2)
	v_add_co_ci_u32_e64 v24, s0, v4, v8, s0
	s_clause 0xc
	global_load_b64 v[17:18], v[23:24], off
	global_load_b64 v[29:30], v[23:24], off offset:24
	global_load_b64 v[27:28], v[23:24], off offset:48
	global_load_b64 v[19:20], v[23:24], off offset:72
	global_load_b64 v[13:14], v[23:24], off offset:96
	global_load_b64 v[9:10], v[23:24], off offset:120
	global_load_b64 v[5:6], v[23:24], off offset:144
	global_load_b64 v[7:8], v[23:24], off offset:168
	global_load_b64 v[11:12], v[23:24], off offset:192
	global_load_b64 v[15:16], v[23:24], off offset:216
	global_load_b64 v[21:22], v[23:24], off offset:240
	global_load_b64 v[25:26], v[23:24], off offset:264
	global_load_b64 v[23:24], v[23:24], off offset:288
; %bb.11:
	s_wait_alu 0xfffe
	s_or_b32 exec_lo, exec_lo, s2
	v_mov_b32_e32 v4, v3
.LBB0_12:
	s_wait_alu 0xfffe
	s_or_b32 exec_lo, exec_lo, s1
	v_mul_hi_u32 v0, 0xaf286bcb, v31
	v_cmp_gt_u32_e64 s0, 3, v3
	s_delay_alu instid0(VALU_DEP_2) | instskip(NEXT) | instid1(VALU_DEP_1)
	v_sub_nc_u32_e32 v32, v31, v0
	v_lshrrev_b32_e32 v32, 1, v32
	s_delay_alu instid0(VALU_DEP_1) | instskip(NEXT) | instid1(VALU_DEP_1)
	v_add_nc_u32_e32 v0, v32, v0
	v_lshrrev_b32_e32 v0, 4, v0
	s_delay_alu instid0(VALU_DEP_1) | instskip(NEXT) | instid1(VALU_DEP_1)
	v_mul_lo_u32 v0, v0, 19
	v_sub_nc_u32_e32 v0, v31, v0
	s_delay_alu instid0(VALU_DEP_1) | instskip(NEXT) | instid1(VALU_DEP_1)
	v_mul_u32_u24_e32 v0, 39, v0
	v_lshlrev_b32_e32 v0, 2, v0
	s_and_saveexec_b32 s1, s0
	s_cbranch_execz .LBB0_14
; %bb.13:
	s_wait_loadcnt 0x0
	v_dual_sub_f32 v31, v30, v24 :: v_dual_add_f32 v32, v29, v23
	v_dual_add_f32 v33, v27, v25 :: v_dual_sub_f32 v34, v28, v26
	s_delay_alu instid0(VALU_DEP_2) | instskip(SKIP_1) | instid1(VALU_DEP_3)
	v_dual_add_f32 v35, v19, v21 :: v_dual_mul_f32 v36, 0xbe750f2a, v31
	v_dual_sub_f32 v37, v20, v22 :: v_dual_add_f32 v38, v13, v15
	v_dual_sub_f32 v39, v14, v16 :: v_dual_mul_f32 v40, 0x3eedf032, v34
	s_delay_alu instid0(VALU_DEP_3) | instskip(SKIP_1) | instid1(VALU_DEP_4)
	v_dual_fmamk_f32 v41, v32, 0xbf788fa5, v36 :: v_dual_add_f32 v42, v9, v11
	v_fma_f32 v36, 0xbf788fa5, v32, -v36
	v_dual_sub_f32 v43, v10, v12 :: v_dual_mul_f32 v44, 0xbf29c268, v37
	s_delay_alu instid0(VALU_DEP_3) | instskip(NEXT) | instid1(VALU_DEP_3)
	v_add_f32_e32 v41, v17, v41
	v_dual_mul_f32 v47, 0x3f52af12, v39 :: v_dual_add_f32 v36, v17, v36
	v_fmamk_f32 v45, v33, 0x3f62ad3f, v40
	v_fma_f32 v40, 0x3f62ad3f, v33, -v40
	v_fmamk_f32 v48, v35, 0xbf3f9e67, v44
	s_delay_alu instid0(VALU_DEP_4) | instskip(SKIP_1) | instid1(VALU_DEP_4)
	v_dual_add_f32 v46, v5, v7 :: v_dual_fmamk_f32 v49, v38, 0x3f116cb1, v47
	v_fma_f32 v44, 0xbf3f9e67, v35, -v44
	v_dual_add_f32 v36, v36, v40 :: v_dual_add_f32 v41, v41, v45
	v_dual_sub_f32 v51, v6, v8 :: v_dual_mul_f32 v52, 0xbf52af12, v37
	s_delay_alu instid0(VALU_DEP_2) | instskip(NEXT) | instid1(VALU_DEP_3)
	v_dual_mul_f32 v57, 0xbe750f2a, v37 :: v_dual_add_f32 v36, v36, v44
	v_dual_add_f32 v41, v41, v48 :: v_dual_mul_f32 v48, 0xbf29c268, v31
	v_mul_f32_e32 v45, 0xbf6f5d39, v43
	v_fma_f32 v44, 0x3f116cb1, v38, -v47
	v_mul_f32_e32 v58, 0x3f7e222b, v43
	s_delay_alu instid0(VALU_DEP_4)
	v_dual_add_f32 v40, v41, v49 :: v_dual_fmamk_f32 v41, v32, 0xbf3f9e67, v48
	v_mul_f32_e32 v49, 0x3f7e222b, v34
	v_fma_f32 v48, 0xbf3f9e67, v32, -v48
	v_fmamk_f32 v50, v42, 0xbeb58ec6, v45
	v_add_f32_e32 v36, v36, v44
	v_fma_f32 v44, 0xbeb58ec6, v42, -v45
	v_fmamk_f32 v47, v33, 0x3df6dbef, v49
	v_dual_mul_f32 v53, 0x3f7e222b, v51 :: v_dual_add_f32 v48, v17, v48
	v_dual_add_f32 v41, v17, v41 :: v_dual_add_f32 v40, v40, v50
	s_delay_alu instid0(VALU_DEP_4) | instskip(NEXT) | instid1(VALU_DEP_3)
	v_add_f32_e32 v36, v36, v44
	v_fmamk_f32 v50, v46, 0x3df6dbef, v53
	v_fmamk_f32 v45, v35, 0x3f116cb1, v52
	s_delay_alu instid0(VALU_DEP_4) | instskip(SKIP_4) | instid1(VALU_DEP_4)
	v_add_f32_e32 v41, v41, v47
	v_fma_f32 v53, 0x3df6dbef, v46, -v53
	v_mul_f32_e32 v47, 0x3e750f2a, v39
	v_fma_f32 v49, 0x3df6dbef, v33, -v49
	v_add_f32_e32 v40, v40, v50
	v_add_f32_e32 v36, v36, v53
	s_delay_alu instid0(VALU_DEP_4) | instskip(NEXT) | instid1(VALU_DEP_4)
	v_dual_add_f32 v41, v41, v45 :: v_dual_fmamk_f32 v44, v38, 0xbf788fa5, v47
	v_dual_mul_f32 v45, 0x3eedf032, v43 :: v_dual_add_f32 v48, v48, v49
	v_fma_f32 v49, 0x3f116cb1, v35, -v52
	v_fma_f32 v47, 0xbf788fa5, v38, -v47
	s_delay_alu instid0(VALU_DEP_3) | instskip(SKIP_1) | instid1(VALU_DEP_4)
	v_dual_add_f32 v41, v41, v44 :: v_dual_fmamk_f32 v44, v42, 0x3f62ad3f, v45
	v_mul_f32_e32 v50, 0xbf6f5d39, v31
	v_add_f32_e32 v48, v48, v49
	v_mul_f32_e32 v56, 0x3eedf032, v37
	v_fma_f32 v45, 0x3f62ad3f, v42, -v45
	v_add_f32_e32 v41, v41, v44
	s_delay_alu instid0(VALU_DEP_4) | instskip(SKIP_2) | instid1(VALU_DEP_2)
	v_add_f32_e32 v47, v48, v47
	v_fma_f32 v48, 0xbeb58ec6, v32, -v50
	v_fmamk_f32 v53, v32, 0xbeb58ec6, v50
	v_dual_add_f32 v45, v47, v45 :: v_dual_add_f32 v48, v17, v48
	s_delay_alu instid0(VALU_DEP_2) | instskip(NEXT) | instid1(VALU_DEP_1)
	v_dual_mul_f32 v44, 0xbf6f5d39, v51 :: v_dual_add_f32 v53, v17, v53
	v_fmamk_f32 v52, v46, 0xbeb58ec6, v44
	v_mul_f32_e32 v54, 0x3f29c268, v34
	v_fma_f32 v44, 0xbeb58ec6, v46, -v44
	s_delay_alu instid0(VALU_DEP_3) | instskip(NEXT) | instid1(VALU_DEP_3)
	v_add_f32_e32 v41, v41, v52
	v_fmamk_f32 v55, v33, 0xbf3f9e67, v54
	v_fma_f32 v54, 0xbf3f9e67, v33, -v54
	s_delay_alu instid0(VALU_DEP_4) | instskip(NEXT) | instid1(VALU_DEP_2)
	v_add_f32_e32 v44, v45, v44
	v_dual_add_f32 v48, v48, v54 :: v_dual_add_f32 v49, v53, v55
	v_mul_f32_e32 v53, 0xbf7e222b, v39
	v_fma_f32 v54, 0x3f62ad3f, v35, -v56
	s_delay_alu instid0(VALU_DEP_2) | instskip(SKIP_1) | instid1(VALU_DEP_3)
	v_fmamk_f32 v50, v38, 0x3df6dbef, v53
	v_fmamk_f32 v52, v35, 0x3f62ad3f, v56
	v_add_f32_e32 v48, v48, v54
	v_fma_f32 v53, 0x3df6dbef, v38, -v53
	v_mul_f32_e32 v55, 0xbf7e222b, v31
	s_delay_alu instid0(VALU_DEP_4) | instskip(SKIP_1) | instid1(VALU_DEP_4)
	v_dual_mul_f32 v56, 0xbf6f5d39, v34 :: v_dual_add_f32 v49, v49, v52
	v_mul_f32_e32 v52, 0x3e750f2a, v43
	v_add_f32_e32 v48, v48, v53
	s_delay_alu instid0(VALU_DEP_4) | instskip(NEXT) | instid1(VALU_DEP_4)
	v_fma_f32 v53, 0x3df6dbef, v32, -v55
	v_add_f32_e32 v47, v49, v50
	s_delay_alu instid0(VALU_DEP_4) | instskip(SKIP_2) | instid1(VALU_DEP_3)
	v_fmamk_f32 v49, v42, 0xbf788fa5, v52
	v_mul_f32_e32 v50, 0x3f52af12, v51
	v_fma_f32 v52, 0xbf788fa5, v42, -v52
	v_add_f32_e32 v47, v47, v49
	s_delay_alu instid0(VALU_DEP_2) | instskip(SKIP_2) | instid1(VALU_DEP_3)
	v_dual_fmamk_f32 v49, v46, 0x3f116cb1, v50 :: v_dual_add_f32 v48, v48, v52
	v_add_f32_e32 v52, v17, v53
	v_fma_f32 v50, 0x3f116cb1, v46, -v50
	v_add_f32_e32 v45, v47, v49
	v_fmamk_f32 v47, v32, 0x3df6dbef, v55
	v_mul_f32_e32 v49, 0xbe750f2a, v34
	s_delay_alu instid0(VALU_DEP_4) | instskip(SKIP_1) | instid1(VALU_DEP_4)
	v_dual_mul_f32 v55, 0x3f6f5d39, v37 :: v_dual_add_f32 v48, v48, v50
	v_mul_f32_e32 v37, 0xbf7e222b, v37
	v_add_f32_e32 v47, v17, v47
	s_delay_alu instid0(VALU_DEP_4) | instskip(SKIP_2) | instid1(VALU_DEP_3)
	v_fmamk_f32 v54, v33, 0xbf788fa5, v49
	v_fma_f32 v49, 0xbf788fa5, v33, -v49
	v_fmamk_f32 v53, v35, 0xbeb58ec6, v55
	v_dual_add_f32 v47, v47, v54 :: v_dual_mul_f32 v54, 0x3eedf032, v39
	s_delay_alu instid0(VALU_DEP_3) | instskip(SKIP_2) | instid1(VALU_DEP_4)
	v_add_f32_e32 v49, v52, v49
	v_fma_f32 v52, 0xbeb58ec6, v35, -v55
	v_mul_f32_e32 v55, 0xbf52af12, v43
	v_add_f32_e32 v47, v47, v53
	v_fmamk_f32 v53, v38, 0x3f62ad3f, v54
	v_fma_f32 v50, 0x3f62ad3f, v38, -v54
	v_mul_f32_e32 v54, 0xbf52af12, v31
	v_mul_f32_e32 v31, 0xbeedf032, v31
	s_delay_alu instid0(VALU_DEP_4) | instskip(SKIP_2) | instid1(VALU_DEP_1)
	v_add_f32_e32 v47, v47, v53
	v_mul_f32_e32 v53, 0xbf29c268, v51
	v_dual_add_f32 v49, v49, v52 :: v_dual_fmamk_f32 v52, v42, 0x3f116cb1, v55
	v_dual_add_f32 v47, v47, v52 :: v_dual_fmamk_f32 v52, v46, 0xbf3f9e67, v53
	s_delay_alu instid0(VALU_DEP_2) | instskip(SKIP_2) | instid1(VALU_DEP_2)
	v_add_f32_e32 v49, v49, v50
	v_fma_f32 v50, 0x3f116cb1, v42, -v55
	v_fmamk_f32 v55, v32, 0x3f116cb1, v54
	v_add_f32_e32 v49, v49, v50
	v_fma_f32 v50, 0x3f116cb1, v32, -v54
	s_delay_alu instid0(VALU_DEP_3) | instskip(SKIP_2) | instid1(VALU_DEP_4)
	v_add_f32_e32 v54, v17, v55
	v_fmamk_f32 v55, v33, 0xbeb58ec6, v56
	v_fma_f32 v56, 0xbeb58ec6, v33, -v56
	v_add_f32_e32 v50, v17, v50
	s_delay_alu instid0(VALU_DEP_1) | instskip(SKIP_1) | instid1(VALU_DEP_1)
	v_add_f32_e32 v50, v50, v56
	v_fma_f32 v56, 0xbf788fa5, v35, -v57
	v_add_f32_e32 v50, v50, v56
	v_fma_f32 v53, 0xbf3f9e67, v46, -v53
	s_delay_alu instid0(VALU_DEP_1) | instskip(SKIP_4) | instid1(VALU_DEP_2)
	v_add_f32_e32 v49, v49, v53
	v_dual_add_f32 v53, v54, v55 :: v_dual_fmamk_f32 v54, v35, 0xbf788fa5, v57
	v_mul_f32_e32 v55, 0x3f29c268, v39
	v_add_f32_e32 v57, v17, v29
	v_mul_f32_e32 v39, 0xbf6f5d39, v39
	v_add_f32_e32 v56, v57, v27
	v_mul_f32_e32 v57, 0x3eedf032, v51
	v_dual_add_f32 v53, v53, v54 :: v_dual_fmamk_f32 v54, v38, 0xbf3f9e67, v55
	s_delay_alu instid0(VALU_DEP_1) | instskip(SKIP_1) | instid1(VALU_DEP_1)
	v_dual_add_f32 v56, v56, v19 :: v_dual_add_f32 v53, v53, v54
	v_fmamk_f32 v54, v42, 0x3df6dbef, v58
	v_dual_add_f32 v53, v53, v54 :: v_dual_add_f32 v54, v56, v13
	s_delay_alu instid0(VALU_DEP_1) | instskip(NEXT) | instid1(VALU_DEP_1)
	v_add_f32_e32 v54, v54, v9
	v_add_f32_e32 v54, v54, v5
	v_fma_f32 v55, 0xbf3f9e67, v38, -v55
	s_delay_alu instid0(VALU_DEP_1) | instskip(SKIP_1) | instid1(VALU_DEP_1)
	v_add_f32_e32 v50, v50, v55
	v_fma_f32 v55, 0x3df6dbef, v42, -v58
	v_add_f32_e32 v50, v50, v55
	v_fma_f32 v55, 0x3f62ad3f, v32, -v31
	s_delay_alu instid0(VALU_DEP_1) | instskip(NEXT) | instid1(VALU_DEP_1)
	v_dual_fmamk_f32 v31, v32, 0x3f62ad3f, v31 :: v_dual_add_f32 v32, v17, v55
	v_dual_mul_f32 v34, 0xbf52af12, v34 :: v_dual_add_f32 v17, v17, v31
	s_delay_alu instid0(VALU_DEP_1) | instskip(SKIP_2) | instid1(VALU_DEP_3)
	v_fma_f32 v55, 0x3f116cb1, v33, -v34
	v_fmamk_f32 v31, v33, 0x3f116cb1, v34
	v_fma_f32 v34, 0x3df6dbef, v35, -v37
	v_add_f32_e32 v32, v32, v55
	s_delay_alu instid0(VALU_DEP_3) | instskip(SKIP_2) | instid1(VALU_DEP_4)
	v_add_f32_e32 v17, v17, v31
	v_fmamk_f32 v31, v35, 0x3df6dbef, v37
	v_mul_f32_e32 v35, 0xbf29c268, v43
	v_dual_mul_f32 v37, 0xbe750f2a, v51 :: v_dual_add_f32 v32, v32, v34
	v_fmamk_f32 v56, v46, 0x3f62ad3f, v57
	v_add_f32_e32 v33, v54, v7
	v_fma_f32 v34, 0xbeb58ec6, v38, -v39
	v_add_f32_e32 v17, v17, v31
	v_fma_f32 v57, 0x3f62ad3f, v46, -v57
	s_delay_alu instid0(VALU_DEP_3) | instskip(SKIP_1) | instid1(VALU_DEP_2)
	v_dual_add_f32 v33, v11, v33 :: v_dual_add_f32 v32, v32, v34
	v_fma_f32 v34, 0xbf3f9e67, v42, -v35
	v_add_f32_e32 v31, v15, v33
	v_dual_fmamk_f32 v33, v38, 0xbeb58ec6, v39 :: v_dual_add_f32 v38, v53, v56
	s_delay_alu instid0(VALU_DEP_3) | instskip(SKIP_1) | instid1(VALU_DEP_4)
	v_add_f32_e32 v32, v32, v34
	v_fma_f32 v34, 0xbf788fa5, v46, -v37
	v_add_f32_e32 v31, v21, v31
	s_delay_alu instid0(VALU_DEP_4) | instskip(SKIP_2) | instid1(VALU_DEP_4)
	v_add_f32_e32 v17, v17, v33
	v_fmamk_f32 v33, v42, 0xbf3f9e67, v35
	v_mul_u32_u24_e32 v35, 52, v3
	v_dual_add_f32 v32, v32, v34 :: v_dual_add_f32 v31, v25, v31
	s_delay_alu instid0(VALU_DEP_3) | instskip(SKIP_1) | instid1(VALU_DEP_4)
	v_add_f32_e32 v17, v17, v33
	v_fmamk_f32 v33, v46, 0xbf788fa5, v37
	v_add3_u32 v34, 0, v35, v0
	s_delay_alu instid0(VALU_DEP_4)
	v_add_f32_e32 v31, v23, v31
	v_add_f32_e32 v35, v50, v57
	;; [unrolled: 1-line block ×4, first 2 shown]
	ds_store_2addr_b32 v34, v31, v32 offset1:1
	ds_store_2addr_b32 v34, v35, v49 offset0:2 offset1:3
	ds_store_2addr_b32 v34, v48, v44 offset0:4 offset1:5
	;; [unrolled: 1-line block ×5, first 2 shown]
	ds_store_b32 v34, v17 offset:48
.LBB0_14:
	s_wait_alu 0xfffe
	s_or_b32 exec_lo, exec_lo, s1
	s_wait_loadcnt 0xc
	v_lshlrev_b32_e32 v17, 2, v3
	global_wb scope:SCOPE_SE
	s_wait_loadcnt_dscnt 0x0
	s_barrier_signal -1
	s_barrier_wait -1
	global_inv scope:SCOPE_SE
	v_add_nc_u32_e32 v35, 0, v17
	v_add3_u32 v33, 0, v0, v17
	s_delay_alu instid0(VALU_DEP_2)
	v_add_nc_u32_e32 v34, v35, v0
	ds_load_b32 v17, v33
	ds_load_2addr_b32 v[31:32], v34 offset0:13 offset1:26
	global_wb scope:SCOPE_SE
	s_wait_dscnt 0x0
	s_barrier_signal -1
	s_barrier_wait -1
	global_inv scope:SCOPE_SE
	s_and_saveexec_b32 s1, s0
	s_cbranch_execz .LBB0_16
; %bb.15:
	v_dual_add_f32 v36, v18, v30 :: v_dual_sub_f32 v23, v29, v23
	v_sub_f32_e32 v25, v27, v25
	v_dual_add_f32 v29, v30, v24 :: v_dual_add_f32 v30, v28, v26
	s_delay_alu instid0(VALU_DEP_3) | instskip(SKIP_2) | instid1(VALU_DEP_3)
	v_dual_add_f32 v27, v36, v28 :: v_dual_mul_f32 v36, 0xbf52af12, v23
	v_mul_f32_e32 v38, 0xbf6f5d39, v23
	v_dual_mul_f32 v28, 0xbeedf032, v23 :: v_dual_sub_f32 v19, v19, v21
	v_dual_add_f32 v27, v27, v20 :: v_dual_mul_f32 v40, 0xbf52af12, v25
	s_delay_alu instid0(VALU_DEP_3) | instskip(SKIP_2) | instid1(VALU_DEP_4)
	v_fmamk_f32 v47, v29, 0xbeb58ec6, v38
	v_fma_f32 v38, 0xbeb58ec6, v29, -v38
	v_fmamk_f32 v45, v29, 0x3f116cb1, v36
	v_dual_add_f32 v27, v27, v14 :: v_dual_fmamk_f32 v44, v29, 0x3f62ad3f, v28
	v_fma_f32 v28, 0x3f62ad3f, v29, -v28
	v_mul_f32_e32 v39, 0xbf29c268, v23
	v_fma_f32 v36, 0x3f116cb1, v29, -v36
	s_delay_alu instid0(VALU_DEP_4) | instskip(SKIP_2) | instid1(VALU_DEP_2)
	v_add_f32_e32 v27, v27, v10
	v_dual_mul_f32 v37, 0xbf7e222b, v23 :: v_dual_add_f32 v44, v18, v44
	v_dual_mul_f32 v23, 0xbe750f2a, v23 :: v_dual_mul_f32 v42, 0xbe750f2a, v25
	v_dual_add_f32 v27, v27, v6 :: v_dual_fmamk_f32 v46, v29, 0x3df6dbef, v37
	v_dual_mul_f32 v41, 0xbf6f5d39, v25 :: v_dual_add_f32 v36, v18, v36
	v_add_f32_e32 v28, v18, v28
	s_delay_alu instid0(VALU_DEP_3) | instskip(NEXT) | instid1(VALU_DEP_4)
	v_dual_fmamk_f32 v48, v29, 0xbf3f9e67, v39 :: v_dual_add_f32 v27, v27, v8
	v_dual_mul_f32 v43, 0x3f29c268, v25 :: v_dual_add_f32 v46, v18, v46
	v_fma_f32 v37, 0x3df6dbef, v29, -v37
	v_fma_f32 v39, 0xbf3f9e67, v29, -v39
	s_delay_alu instid0(VALU_DEP_4)
	v_dual_fmamk_f32 v49, v29, 0xbf788fa5, v23 :: v_dual_add_f32 v48, v18, v48
	v_fma_f32 v23, 0xbf788fa5, v29, -v23
	v_fmamk_f32 v29, v30, 0x3f116cb1, v40
	v_fma_f32 v40, 0x3f116cb1, v30, -v40
	v_fmamk_f32 v50, v30, 0xbeb58ec6, v41
	v_fma_f32 v41, 0xbeb58ec6, v30, -v41
	v_add_f32_e32 v38, v18, v38
	v_add_f32_e32 v45, v18, v45
	;; [unrolled: 1-line block ×3, first 2 shown]
	v_dual_add_f32 v37, v18, v37 :: v_dual_add_f32 v20, v20, v22
	v_dual_add_f32 v47, v18, v47 :: v_dual_add_f32 v36, v36, v41
	v_add_f32_e32 v28, v28, v40
	v_fma_f32 v40, 0xbf788fa5, v30, -v42
	v_fmamk_f32 v41, v30, 0xbf3f9e67, v43
	v_add_f32_e32 v27, v16, v27
	v_add_f32_e32 v39, v18, v39
	v_dual_sub_f32 v5, v5, v7 :: v_dual_add_f32 v6, v6, v8
	s_delay_alu instid0(VALU_DEP_4) | instskip(NEXT) | instid1(VALU_DEP_4)
	v_dual_add_f32 v37, v37, v40 :: v_dual_add_f32 v40, v47, v41
	v_add_f32_e32 v27, v22, v27
	v_dual_add_f32 v14, v14, v16 :: v_dual_sub_f32 v13, v13, v15
	v_dual_add_f32 v10, v10, v12 :: v_dual_sub_f32 v9, v9, v11
	s_delay_alu instid0(VALU_DEP_3)
	v_add_f32_e32 v26, v26, v27
	v_add_f32_e32 v27, v18, v49
	v_dual_add_f32 v18, v18, v23 :: v_dual_add_f32 v23, v44, v29
	v_fmamk_f32 v29, v30, 0xbf788fa5, v42
	v_fma_f32 v42, 0xbf3f9e67, v30, -v43
	v_dual_mul_f32 v43, 0x3f7e222b, v25 :: v_dual_add_f32 v24, v24, v26
	v_add_f32_e32 v26, v45, v50
	v_mul_f32_e32 v16, 0xbf6f5d39, v13
	s_delay_alu instid0(VALU_DEP_4) | instskip(NEXT) | instid1(VALU_DEP_4)
	v_dual_add_f32 v38, v38, v42 :: v_dual_mul_f32 v25, 0x3eedf032, v25
	v_fma_f32 v41, 0x3df6dbef, v30, -v43
	v_fmamk_f32 v21, v30, 0x3df6dbef, v43
	v_mul_f32_e32 v12, 0xbf29c268, v9
	v_mul_f32_e32 v8, 0xbe750f2a, v5
	v_fmamk_f32 v42, v30, 0x3f62ad3f, v25
	v_mul_f32_e32 v22, 0xbf7e222b, v19
	v_fma_f32 v25, 0x3f62ad3f, v30, -v25
	v_add_f32_e32 v30, v39, v41
	v_add_f32_e32 v21, v48, v21
	s_delay_alu instid0(VALU_DEP_3) | instskip(SKIP_1) | instid1(VALU_DEP_1)
	v_dual_fmamk_f32 v39, v20, 0x3df6dbef, v22 :: v_dual_add_f32 v18, v18, v25
	v_fma_f32 v22, 0x3df6dbef, v20, -v22
	v_dual_add_f32 v23, v23, v39 :: v_dual_add_f32 v22, v28, v22
	v_mul_f32_e32 v41, 0xbe750f2a, v19
	v_mul_f32_e32 v28, 0x3eedf032, v19
	s_delay_alu instid0(VALU_DEP_2) | instskip(SKIP_1) | instid1(VALU_DEP_2)
	v_fmamk_f32 v25, v20, 0xbf788fa5, v41
	v_fma_f32 v41, 0xbf788fa5, v20, -v41
	v_add_f32_e32 v25, v26, v25
	s_delay_alu instid0(VALU_DEP_2)
	v_dual_add_f32 v36, v36, v41 :: v_dual_mul_f32 v39, 0x3f6f5d39, v19
	v_add_f32_e32 v29, v46, v29
	v_add_f32_e32 v27, v27, v42
	v_fmamk_f32 v41, v20, 0x3f62ad3f, v28
	v_fma_f32 v28, 0x3f62ad3f, v20, -v28
	v_fmamk_f32 v26, v20, 0xbeb58ec6, v39
	v_fma_f32 v39, 0xbeb58ec6, v20, -v39
	s_delay_alu instid0(VALU_DEP_3) | instskip(NEXT) | instid1(VALU_DEP_3)
	v_add_f32_e32 v28, v38, v28
	v_dual_add_f32 v26, v29, v26 :: v_dual_mul_f32 v29, 0xbf52af12, v19
	v_mul_f32_e32 v19, 0xbf29c268, v19
	s_delay_alu instid0(VALU_DEP_4) | instskip(NEXT) | instid1(VALU_DEP_3)
	v_add_f32_e32 v37, v37, v39
	v_fmamk_f32 v15, v20, 0x3f116cb1, v29
	v_fma_f32 v29, 0x3f116cb1, v20, -v29
	s_delay_alu instid0(VALU_DEP_2) | instskip(SKIP_4) | instid1(VALU_DEP_4)
	v_add_f32_e32 v15, v21, v15
	v_fmamk_f32 v21, v20, 0xbf3f9e67, v19
	v_fma_f32 v19, 0xbf3f9e67, v20, -v19
	v_fmamk_f32 v20, v14, 0xbeb58ec6, v16
	v_fma_f32 v16, 0xbeb58ec6, v14, -v16
	v_add_f32_e32 v21, v27, v21
	s_delay_alu instid0(VALU_DEP_4) | instskip(NEXT) | instid1(VALU_DEP_3)
	v_dual_mul_f32 v27, 0xbf7e222b, v13 :: v_dual_add_f32 v18, v18, v19
	v_add_f32_e32 v16, v22, v16
	v_add_f32_e32 v29, v30, v29
	v_mul_f32_e32 v30, 0x3f29c268, v13
	v_add_f32_e32 v39, v40, v41
	s_delay_alu instid0(VALU_DEP_2) | instskip(SKIP_3) | instid1(VALU_DEP_3)
	v_dual_add_f32 v19, v23, v20 :: v_dual_fmamk_f32 v20, v14, 0xbf3f9e67, v30
	v_fma_f32 v22, 0xbf3f9e67, v14, -v30
	v_fmamk_f32 v30, v14, 0x3df6dbef, v27
	v_fma_f32 v27, 0x3df6dbef, v14, -v27
	v_add_f32_e32 v22, v36, v22
	s_delay_alu instid0(VALU_DEP_3) | instskip(NEXT) | instid1(VALU_DEP_3)
	v_dual_add_f32 v30, v39, v30 :: v_dual_mul_f32 v11, 0x3f52af12, v13
	v_add_f32_e32 v27, v28, v27
	v_dual_mul_f32 v23, 0x3eedf032, v13 :: v_dual_add_f32 v20, v25, v20
	s_delay_alu instid0(VALU_DEP_3) | instskip(SKIP_1) | instid1(VALU_DEP_2)
	v_fmamk_f32 v28, v14, 0x3f116cb1, v11
	v_fma_f32 v11, 0x3f116cb1, v14, -v11
	v_add_f32_e32 v21, v21, v28
	s_delay_alu instid0(VALU_DEP_2) | instskip(NEXT) | instid1(VALU_DEP_1)
	v_dual_add_f32 v11, v18, v11 :: v_dual_mul_f32 v18, 0xbf52af12, v9
	v_fmamk_f32 v28, v10, 0x3f116cb1, v18
	v_fma_f32 v18, 0x3f116cb1, v10, -v18
	v_fmamk_f32 v25, v14, 0x3f62ad3f, v23
	v_fma_f32 v23, 0x3f62ad3f, v14, -v23
	s_delay_alu instid0(VALU_DEP_1) | instskip(NEXT) | instid1(VALU_DEP_1)
	v_add_f32_e32 v23, v37, v23
	v_dual_add_f32 v18, v23, v18 :: v_dual_add_f32 v25, v26, v25
	v_mul_f32_e32 v26, 0x3e750f2a, v13
	s_delay_alu instid0(VALU_DEP_1) | instskip(SKIP_3) | instid1(VALU_DEP_4)
	v_fmamk_f32 v13, v14, 0xbf788fa5, v26
	v_fma_f32 v26, 0xbf788fa5, v14, -v26
	v_fmamk_f32 v14, v10, 0xbf3f9e67, v12
	v_fma_f32 v12, 0xbf3f9e67, v10, -v12
	v_add_f32_e32 v13, v15, v13
	s_delay_alu instid0(VALU_DEP_3) | instskip(NEXT) | instid1(VALU_DEP_3)
	v_add_f32_e32 v14, v19, v14
	v_dual_add_f32 v12, v16, v12 :: v_dual_add_f32 v15, v29, v26
	v_mul_f32_e32 v26, 0x3f7e222b, v9
	s_delay_alu instid0(VALU_DEP_1) | instskip(SKIP_2) | instid1(VALU_DEP_2)
	v_fmamk_f32 v19, v10, 0x3df6dbef, v26
	v_fma_f32 v16, 0x3df6dbef, v10, -v26
	v_mul_f32_e32 v26, 0x3e750f2a, v9
	v_add_f32_e32 v16, v22, v16
	s_delay_alu instid0(VALU_DEP_4) | instskip(NEXT) | instid1(VALU_DEP_3)
	v_dual_add_f32 v22, v25, v28 :: v_dual_add_f32 v19, v20, v19
	v_fmamk_f32 v20, v10, 0xbf788fa5, v26
	v_mul_f32_e32 v23, 0x3eedf032, v9
	v_mul_f32_e32 v9, 0xbf6f5d39, v9
	v_fma_f32 v25, 0xbf788fa5, v10, -v26
	s_delay_alu instid0(VALU_DEP_4) | instskip(NEXT) | instid1(VALU_DEP_4)
	v_add_f32_e32 v20, v30, v20
	v_fmamk_f32 v7, v10, 0x3f62ad3f, v23
	v_fma_f32 v23, 0x3f62ad3f, v10, -v23
	v_fmamk_f32 v26, v10, 0xbeb58ec6, v9
	v_fma_f32 v9, 0xbeb58ec6, v10, -v9
	s_delay_alu instid0(VALU_DEP_4) | instskip(NEXT) | instid1(VALU_DEP_3)
	v_add_f32_e32 v7, v13, v7
	v_dual_add_f32 v13, v15, v23 :: v_dual_add_f32 v10, v21, v26
	v_fmamk_f32 v15, v6, 0xbf788fa5, v8
	v_mul_f32_e32 v21, 0x3eedf032, v5
	v_fma_f32 v8, 0xbf788fa5, v6, -v8
	s_delay_alu instid0(VALU_DEP_3) | instskip(NEXT) | instid1(VALU_DEP_2)
	v_dual_mul_f32 v23, 0x3f52af12, v5 :: v_dual_add_f32 v14, v14, v15
	v_dual_fmamk_f32 v15, v6, 0x3f62ad3f, v21 :: v_dual_add_f32 v8, v12, v8
	v_fma_f32 v12, 0x3f62ad3f, v6, -v21
	s_delay_alu instid0(VALU_DEP_1) | instskip(SKIP_1) | instid1(VALU_DEP_1)
	v_dual_add_f32 v12, v16, v12 :: v_dual_add_f32 v9, v11, v9
	v_mul_f32_e32 v11, 0xbf29c268, v5
	v_fmamk_f32 v21, v6, 0xbf3f9e67, v11
	v_fma_f32 v11, 0xbf3f9e67, v6, -v11
	s_delay_alu instid0(VALU_DEP_2) | instskip(SKIP_2) | instid1(VALU_DEP_4)
	v_dual_add_f32 v16, v22, v21 :: v_dual_add_f32 v15, v19, v15
	v_fmamk_f32 v19, v6, 0x3f116cb1, v23
	v_fma_f32 v21, 0x3f116cb1, v6, -v23
	v_dual_add_f32 v11, v18, v11 :: v_dual_mul_f32 v18, 0xbf6f5d39, v5
	v_add_f32_e32 v25, v27, v25
	v_mul_f32_e32 v5, 0x3f7e222b, v5
	s_delay_alu instid0(VALU_DEP_3) | instskip(NEXT) | instid1(VALU_DEP_3)
	v_dual_add_f32 v19, v20, v19 :: v_dual_fmamk_f32 v22, v6, 0xbeb58ec6, v18
	v_add_f32_e32 v20, v25, v21
	v_mul_u32_u24_e32 v21, 48, v3
	s_delay_alu instid0(VALU_DEP_4) | instskip(SKIP_4) | instid1(VALU_DEP_4)
	v_fmamk_f32 v23, v6, 0x3df6dbef, v5
	v_fma_f32 v5, 0x3df6dbef, v6, -v5
	v_fma_f32 v6, 0xbeb58ec6, v6, -v18
	v_add_f32_e32 v7, v7, v22
	v_add3_u32 v0, v35, v21, v0
	v_dual_add_f32 v10, v10, v23 :: v_dual_add_f32 v5, v9, v5
	s_delay_alu instid0(VALU_DEP_4)
	v_add_f32_e32 v6, v13, v6
	ds_store_2addr_b32 v0, v24, v14 offset1:1
	ds_store_2addr_b32 v0, v15, v16 offset0:2 offset1:3
	ds_store_2addr_b32 v0, v19, v7 offset0:4 offset1:5
	;; [unrolled: 1-line block ×5, first 2 shown]
	ds_store_b32 v0, v8 offset:48
.LBB0_16:
	s_wait_alu 0xfffe
	s_or_b32 exec_lo, exec_lo, s1
	global_wb scope:SCOPE_SE
	s_wait_dscnt 0x0
	s_barrier_signal -1
	s_barrier_wait -1
	global_inv scope:SCOPE_SE
	s_and_saveexec_b32 s0, vcc_lo
	s_cbranch_execz .LBB0_18
; %bb.17:
	v_dual_mov_b32 v10, 0 :: v_dual_lshlrev_b32 v9, 1, v3
	v_lshlrev_b64_e32 v[0:1], 3, v[1:2]
	s_delay_alu instid0(VALU_DEP_2) | instskip(NEXT) | instid1(VALU_DEP_1)
	v_lshlrev_b64_e32 v[5:6], 3, v[9:10]
	v_add_co_u32 v5, vcc_lo, s4, v5
	s_wait_alu 0xfffd
	s_delay_alu instid0(VALU_DEP_2)
	v_add_co_ci_u32_e32 v6, vcc_lo, s5, v6, vcc_lo
	global_load_b128 v[6:9], v[5:6], off
	ds_load_2addr_b32 v[11:12], v34 offset0:13 offset1:26
	ds_load_b32 v3, v33
	s_wait_loadcnt_dscnt 0x1
	v_dual_mul_f32 v2, v11, v7 :: v_dual_mul_f32 v13, v12, v9
	v_mul_f32_e32 v9, v32, v9
	s_delay_alu instid0(VALU_DEP_2) | instskip(NEXT) | instid1(VALU_DEP_2)
	v_fma_f32 v2, v31, v6, -v2
	v_fmac_f32_e32 v9, v8, v12
	v_mov_b32_e32 v5, v10
	v_fma_f32 v10, v32, v8, -v13
	s_delay_alu instid0(VALU_DEP_4) | instskip(SKIP_1) | instid1(VALU_DEP_1)
	v_add_f32_e32 v13, v17, v2
	v_mul_f32_e32 v7, v31, v7
	v_fmac_f32_e32 v7, v6, v11
	v_add_co_u32 v6, vcc_lo, s8, v0
	s_wait_alu 0xfffd
	v_add_co_ci_u32_e32 v8, vcc_lo, s9, v1, vcc_lo
	v_lshlrev_b64_e32 v[0:1], 3, v[4:5]
	v_add_f32_e32 v5, v2, v10
	v_dual_sub_f32 v11, v2, v10 :: v_dual_sub_f32 v12, v7, v9
	s_delay_alu instid0(VALU_DEP_2) | instskip(NEXT) | instid1(VALU_DEP_4)
	v_fma_f32 v2, -0.5, v5, v17
	v_add_co_u32 v0, vcc_lo, v6, v0
	s_wait_alu 0xfffd
	v_add_co_ci_u32_e32 v1, vcc_lo, v8, v1, vcc_lo
	s_delay_alu instid0(VALU_DEP_3) | instskip(SKIP_3) | instid1(VALU_DEP_2)
	v_fmamk_f32 v6, v12, 0xbf5db3d7, v2
	v_add_f32_e32 v4, v7, v9
	s_wait_dscnt 0x0
	v_dual_add_f32 v7, v7, v3 :: v_dual_fmac_f32 v2, 0x3f5db3d7, v12
	v_fma_f32 v3, -0.5, v4, v3
	s_delay_alu instid0(VALU_DEP_2) | instskip(NEXT) | instid1(VALU_DEP_2)
	v_add_f32_e32 v5, v9, v7
	v_dual_add_f32 v4, v13, v10 :: v_dual_fmamk_f32 v7, v11, 0x3f5db3d7, v3
	v_fmac_f32_e32 v3, 0xbf5db3d7, v11
	s_clause 0x2
	global_store_b64 v[0:1], v[4:5], off
	global_store_b64 v[0:1], v[2:3], off offset:104
	global_store_b64 v[0:1], v[6:7], off offset:208
.LBB0_18:
	s_nop 0
	s_sendmsg sendmsg(MSG_DEALLOC_VGPRS)
	s_endpgm
	.section	.rodata,"a",@progbits
	.p2align	6, 0x0
	.amdhsa_kernel fft_rtc_fwd_len39_factors_13_3_wgs_247_tpt_13_halfLds_sp_ip_CI_unitstride_sbrr_dirReg
		.amdhsa_group_segment_fixed_size 0
		.amdhsa_private_segment_fixed_size 0
		.amdhsa_kernarg_size 88
		.amdhsa_user_sgpr_count 2
		.amdhsa_user_sgpr_dispatch_ptr 0
		.amdhsa_user_sgpr_queue_ptr 0
		.amdhsa_user_sgpr_kernarg_segment_ptr 1
		.amdhsa_user_sgpr_dispatch_id 0
		.amdhsa_user_sgpr_private_segment_size 0
		.amdhsa_wavefront_size32 1
		.amdhsa_uses_dynamic_stack 0
		.amdhsa_enable_private_segment 0
		.amdhsa_system_sgpr_workgroup_id_x 1
		.amdhsa_system_sgpr_workgroup_id_y 0
		.amdhsa_system_sgpr_workgroup_id_z 0
		.amdhsa_system_sgpr_workgroup_info 0
		.amdhsa_system_vgpr_workitem_id 0
		.amdhsa_next_free_vgpr 59
		.amdhsa_next_free_sgpr 32
		.amdhsa_reserve_vcc 1
		.amdhsa_float_round_mode_32 0
		.amdhsa_float_round_mode_16_64 0
		.amdhsa_float_denorm_mode_32 3
		.amdhsa_float_denorm_mode_16_64 3
		.amdhsa_fp16_overflow 0
		.amdhsa_workgroup_processor_mode 1
		.amdhsa_memory_ordered 1
		.amdhsa_forward_progress 0
		.amdhsa_round_robin_scheduling 0
		.amdhsa_exception_fp_ieee_invalid_op 0
		.amdhsa_exception_fp_denorm_src 0
		.amdhsa_exception_fp_ieee_div_zero 0
		.amdhsa_exception_fp_ieee_overflow 0
		.amdhsa_exception_fp_ieee_underflow 0
		.amdhsa_exception_fp_ieee_inexact 0
		.amdhsa_exception_int_div_zero 0
	.end_amdhsa_kernel
	.text
.Lfunc_end0:
	.size	fft_rtc_fwd_len39_factors_13_3_wgs_247_tpt_13_halfLds_sp_ip_CI_unitstride_sbrr_dirReg, .Lfunc_end0-fft_rtc_fwd_len39_factors_13_3_wgs_247_tpt_13_halfLds_sp_ip_CI_unitstride_sbrr_dirReg
                                        ; -- End function
	.section	.AMDGPU.csdata,"",@progbits
; Kernel info:
; codeLenInByte = 5328
; NumSgprs: 34
; NumVgprs: 59
; ScratchSize: 0
; MemoryBound: 0
; FloatMode: 240
; IeeeMode: 1
; LDSByteSize: 0 bytes/workgroup (compile time only)
; SGPRBlocks: 4
; VGPRBlocks: 7
; NumSGPRsForWavesPerEU: 34
; NumVGPRsForWavesPerEU: 59
; Occupancy: 16
; WaveLimiterHint : 1
; COMPUTE_PGM_RSRC2:SCRATCH_EN: 0
; COMPUTE_PGM_RSRC2:USER_SGPR: 2
; COMPUTE_PGM_RSRC2:TRAP_HANDLER: 0
; COMPUTE_PGM_RSRC2:TGID_X_EN: 1
; COMPUTE_PGM_RSRC2:TGID_Y_EN: 0
; COMPUTE_PGM_RSRC2:TGID_Z_EN: 0
; COMPUTE_PGM_RSRC2:TIDIG_COMP_CNT: 0
	.text
	.p2alignl 7, 3214868480
	.fill 96, 4, 3214868480
	.type	__hip_cuid_c8ff0e119b00e4bc,@object ; @__hip_cuid_c8ff0e119b00e4bc
	.section	.bss,"aw",@nobits
	.globl	__hip_cuid_c8ff0e119b00e4bc
__hip_cuid_c8ff0e119b00e4bc:
	.byte	0                               ; 0x0
	.size	__hip_cuid_c8ff0e119b00e4bc, 1

	.ident	"AMD clang version 19.0.0git (https://github.com/RadeonOpenCompute/llvm-project roc-6.4.0 25133 c7fe45cf4b819c5991fe208aaa96edf142730f1d)"
	.section	".note.GNU-stack","",@progbits
	.addrsig
	.addrsig_sym __hip_cuid_c8ff0e119b00e4bc
	.amdgpu_metadata
---
amdhsa.kernels:
  - .args:
      - .actual_access:  read_only
        .address_space:  global
        .offset:         0
        .size:           8
        .value_kind:     global_buffer
      - .offset:         8
        .size:           8
        .value_kind:     by_value
      - .actual_access:  read_only
        .address_space:  global
        .offset:         16
        .size:           8
        .value_kind:     global_buffer
      - .actual_access:  read_only
        .address_space:  global
        .offset:         24
        .size:           8
        .value_kind:     global_buffer
      - .offset:         32
        .size:           8
        .value_kind:     by_value
      - .actual_access:  read_only
        .address_space:  global
        .offset:         40
        .size:           8
        .value_kind:     global_buffer
      - .actual_access:  read_only
        .address_space:  global
        .offset:         48
        .size:           8
        .value_kind:     global_buffer
      - .offset:         56
        .size:           4
        .value_kind:     by_value
      - .actual_access:  read_only
        .address_space:  global
        .offset:         64
        .size:           8
        .value_kind:     global_buffer
      - .actual_access:  read_only
        .address_space:  global
        .offset:         72
        .size:           8
        .value_kind:     global_buffer
      - .address_space:  global
        .offset:         80
        .size:           8
        .value_kind:     global_buffer
    .group_segment_fixed_size: 0
    .kernarg_segment_align: 8
    .kernarg_segment_size: 88
    .language:       OpenCL C
    .language_version:
      - 2
      - 0
    .max_flat_workgroup_size: 247
    .name:           fft_rtc_fwd_len39_factors_13_3_wgs_247_tpt_13_halfLds_sp_ip_CI_unitstride_sbrr_dirReg
    .private_segment_fixed_size: 0
    .sgpr_count:     34
    .sgpr_spill_count: 0
    .symbol:         fft_rtc_fwd_len39_factors_13_3_wgs_247_tpt_13_halfLds_sp_ip_CI_unitstride_sbrr_dirReg.kd
    .uniform_work_group_size: 1
    .uses_dynamic_stack: false
    .vgpr_count:     59
    .vgpr_spill_count: 0
    .wavefront_size: 32
    .workgroup_processor_mode: 1
amdhsa.target:   amdgcn-amd-amdhsa--gfx1201
amdhsa.version:
  - 1
  - 2
...

	.end_amdgpu_metadata
